;; amdgpu-corpus repo=ROCm/rocFFT kind=compiled arch=gfx950 opt=O3
	.text
	.amdgcn_target "amdgcn-amd-amdhsa--gfx950"
	.amdhsa_code_object_version 6
	.protected	fft_rtc_back_len80_factors_5_2_8_wgs_60_tpt_10_halfLds_half_op_CI_CI_unitstride_sbrr_R2C_dirReg ; -- Begin function fft_rtc_back_len80_factors_5_2_8_wgs_60_tpt_10_halfLds_half_op_CI_CI_unitstride_sbrr_R2C_dirReg
	.globl	fft_rtc_back_len80_factors_5_2_8_wgs_60_tpt_10_halfLds_half_op_CI_CI_unitstride_sbrr_R2C_dirReg
	.p2align	8
	.type	fft_rtc_back_len80_factors_5_2_8_wgs_60_tpt_10_halfLds_half_op_CI_CI_unitstride_sbrr_R2C_dirReg,@function
fft_rtc_back_len80_factors_5_2_8_wgs_60_tpt_10_halfLds_half_op_CI_CI_unitstride_sbrr_R2C_dirReg: ; @fft_rtc_back_len80_factors_5_2_8_wgs_60_tpt_10_halfLds_half_op_CI_CI_unitstride_sbrr_R2C_dirReg
; %bb.0:
	s_load_dwordx4 s[4:7], s[0:1], 0x58
	s_load_dwordx4 s[8:11], s[0:1], 0x0
	;; [unrolled: 1-line block ×3, first 2 shown]
	v_mul_u32_u24_e32 v1, 0x199a, v0
	v_lshrrev_b32_e32 v2, 16, v1
	v_mad_u64_u32 v[6:7], s[2:3], s2, 6, v[2:3]
	v_mov_b32_e32 v8, 0
	v_mov_b32_e32 v7, v8
	s_waitcnt lgkmcnt(0)
	v_cmp_lt_u64_e64 s[2:3], s[10:11], 2
	v_mov_b64_e32 v[10:11], 0
	s_and_b64 vcc, exec, s[2:3]
	v_mov_b64_e32 v[2:3], v[10:11]
	v_mov_b64_e32 v[4:5], v[6:7]
	s_cbranch_vccnz .LBB0_8
; %bb.1:
	s_load_dwordx2 s[2:3], s[0:1], 0x10
	s_add_u32 s16, s14, 8
	s_addc_u32 s17, s15, 0
	s_add_u32 s18, s12, 8
	s_addc_u32 s19, s13, 0
	s_waitcnt lgkmcnt(0)
	s_add_u32 s20, s2, 8
	v_mov_b64_e32 v[10:11], 0
	s_addc_u32 s21, s3, 0
	s_mov_b64 s[22:23], 1
	v_mov_b64_e32 v[2:3], v[10:11]
	v_mov_b64_e32 v[12:13], v[6:7]
.LBB0_2:                                ; =>This Inner Loop Header: Depth=1
	s_load_dwordx2 s[24:25], s[20:21], 0x0
                                        ; implicit-def: $vgpr4_vgpr5
	s_waitcnt lgkmcnt(0)
	v_or_b32_e32 v9, s25, v13
	v_cmp_ne_u64_e32 vcc, 0, v[8:9]
	s_and_saveexec_b64 s[2:3], vcc
	s_xor_b64 s[26:27], exec, s[2:3]
	s_cbranch_execz .LBB0_4
; %bb.3:                                ;   in Loop: Header=BB0_2 Depth=1
	v_cvt_f32_u32_e32 v1, s24
	v_cvt_f32_u32_e32 v4, s25
	s_sub_u32 s2, 0, s24
	s_subb_u32 s3, 0, s25
	v_fmac_f32_e32 v1, 0x4f800000, v4
	v_rcp_f32_e32 v1, v1
	s_nop 0
	v_mul_f32_e32 v1, 0x5f7ffffc, v1
	v_mul_f32_e32 v4, 0x2f800000, v1
	v_trunc_f32_e32 v4, v4
	v_fmac_f32_e32 v1, 0xcf800000, v4
	v_cvt_u32_f32_e32 v7, v4
	v_cvt_u32_f32_e32 v1, v1
	v_mul_lo_u32 v4, s2, v7
	v_mul_hi_u32 v9, s2, v1
	v_mul_lo_u32 v5, s3, v1
	v_add_u32_e32 v9, v9, v4
	v_mul_lo_u32 v16, s2, v1
	v_add_u32_e32 v9, v9, v5
	v_mul_hi_u32 v4, v1, v16
	v_mul_hi_u32 v15, v1, v9
	v_mul_lo_u32 v14, v1, v9
	v_mov_b32_e32 v5, v8
	v_lshl_add_u64 v[4:5], v[4:5], 0, v[14:15]
	v_mul_hi_u32 v15, v7, v16
	v_mul_lo_u32 v16, v7, v16
	v_add_co_u32_e32 v4, vcc, v4, v16
	v_mul_hi_u32 v14, v7, v9
	s_nop 0
	v_addc_co_u32_e32 v4, vcc, v5, v15, vcc
	v_mov_b32_e32 v5, v8
	s_nop 0
	v_addc_co_u32_e32 v15, vcc, 0, v14, vcc
	v_mul_lo_u32 v14, v7, v9
	v_lshl_add_u64 v[4:5], v[4:5], 0, v[14:15]
	v_add_co_u32_e32 v1, vcc, v1, v4
	v_mul_lo_u32 v14, s2, v1
	s_nop 0
	v_addc_co_u32_e32 v7, vcc, v7, v5, vcc
	v_mul_lo_u32 v4, s2, v7
	v_mul_hi_u32 v5, s2, v1
	v_add_u32_e32 v4, v5, v4
	v_mul_lo_u32 v5, s3, v1
	v_add_u32_e32 v9, v4, v5
	v_mul_hi_u32 v17, v7, v14
	v_mul_lo_u32 v18, v7, v14
	v_mul_hi_u32 v5, v1, v9
	v_mul_lo_u32 v4, v1, v9
	v_mul_hi_u32 v14, v1, v14
	v_mov_b32_e32 v15, v8
	v_lshl_add_u64 v[4:5], v[14:15], 0, v[4:5]
	v_add_co_u32_e32 v4, vcc, v4, v18
	v_mul_hi_u32 v16, v7, v9
	s_nop 0
	v_addc_co_u32_e32 v4, vcc, v5, v17, vcc
	v_mul_lo_u32 v14, v7, v9
	s_nop 0
	v_addc_co_u32_e32 v15, vcc, 0, v16, vcc
	v_mov_b32_e32 v5, v8
	v_lshl_add_u64 v[4:5], v[4:5], 0, v[14:15]
	v_add_co_u32_e32 v1, vcc, v1, v4
	v_mul_hi_u32 v14, v12, v1
	s_nop 0
	v_addc_co_u32_e32 v7, vcc, v7, v5, vcc
	v_mad_u64_u32 v[4:5], s[2:3], v12, v7, 0
	v_mov_b32_e32 v15, v8
	v_lshl_add_u64 v[4:5], v[14:15], 0, v[4:5]
	v_mad_u64_u32 v[16:17], s[2:3], v13, v1, 0
	v_add_co_u32_e32 v1, vcc, v4, v16
	v_mad_u64_u32 v[14:15], s[2:3], v13, v7, 0
	s_nop 0
	v_addc_co_u32_e32 v4, vcc, v5, v17, vcc
	v_mov_b32_e32 v5, v8
	s_nop 0
	v_addc_co_u32_e32 v15, vcc, 0, v15, vcc
	v_lshl_add_u64 v[4:5], v[4:5], 0, v[14:15]
	v_mul_lo_u32 v1, s25, v4
	v_mul_lo_u32 v7, s24, v5
	v_mad_u64_u32 v[14:15], s[2:3], s24, v4, 0
	v_add3_u32 v1, v15, v7, v1
	v_sub_u32_e32 v7, v13, v1
	v_mov_b32_e32 v9, s25
	v_sub_co_u32_e32 v18, vcc, v12, v14
	v_lshl_add_u64 v[16:17], v[4:5], 0, 1
	s_nop 0
	v_subb_co_u32_e64 v7, s[2:3], v7, v9, vcc
	v_subrev_co_u32_e64 v9, s[2:3], s24, v18
	v_subb_co_u32_e32 v1, vcc, v13, v1, vcc
	s_nop 0
	v_subbrev_co_u32_e64 v7, s[2:3], 0, v7, s[2:3]
	v_cmp_le_u32_e64 s[2:3], s25, v7
	v_cmp_le_u32_e32 vcc, s25, v1
	s_nop 0
	v_cndmask_b32_e64 v14, 0, -1, s[2:3]
	v_cmp_le_u32_e64 s[2:3], s24, v9
	s_nop 1
	v_cndmask_b32_e64 v9, 0, -1, s[2:3]
	v_cmp_eq_u32_e64 s[2:3], s25, v7
	s_nop 1
	v_cndmask_b32_e64 v7, v14, v9, s[2:3]
	v_lshl_add_u64 v[14:15], v[4:5], 0, 2
	v_cmp_ne_u32_e64 s[2:3], 0, v7
	v_cndmask_b32_e64 v9, 0, -1, vcc
	v_cmp_le_u32_e32 vcc, s24, v18
	v_cndmask_b32_e64 v7, v17, v15, s[2:3]
	s_nop 0
	v_cndmask_b32_e64 v15, 0, -1, vcc
	v_cmp_eq_u32_e32 vcc, s25, v1
	s_nop 1
	v_cndmask_b32_e32 v1, v9, v15, vcc
	v_cmp_ne_u32_e32 vcc, 0, v1
	v_cndmask_b32_e64 v1, v16, v14, s[2:3]
	s_nop 0
	v_cndmask_b32_e32 v5, v5, v7, vcc
	v_cndmask_b32_e32 v4, v4, v1, vcc
.LBB0_4:                                ;   in Loop: Header=BB0_2 Depth=1
	s_andn2_saveexec_b64 s[2:3], s[26:27]
	s_cbranch_execz .LBB0_6
; %bb.5:                                ;   in Loop: Header=BB0_2 Depth=1
	v_cvt_f32_u32_e32 v1, s24
	s_sub_i32 s26, 0, s24
	v_rcp_iflag_f32_e32 v1, v1
	s_nop 0
	v_mul_f32_e32 v1, 0x4f7ffffe, v1
	v_cvt_u32_f32_e32 v1, v1
	v_mul_lo_u32 v4, s26, v1
	v_mul_hi_u32 v4, v1, v4
	v_add_u32_e32 v1, v1, v4
	v_mul_hi_u32 v1, v12, v1
	v_mul_lo_u32 v4, v1, s24
	v_sub_u32_e32 v4, v12, v4
	v_add_u32_e32 v5, 1, v1
	v_subrev_u32_e32 v7, s24, v4
	v_cmp_le_u32_e32 vcc, s24, v4
	s_nop 1
	v_cndmask_b32_e32 v4, v4, v7, vcc
	v_cndmask_b32_e32 v1, v1, v5, vcc
	v_add_u32_e32 v5, 1, v1
	v_cmp_le_u32_e32 vcc, s24, v4
	s_nop 1
	v_cndmask_b32_e32 v4, v1, v5, vcc
	v_mov_b32_e32 v5, v8
.LBB0_6:                                ;   in Loop: Header=BB0_2 Depth=1
	s_or_b64 exec, exec, s[2:3]
	v_mad_u64_u32 v[14:15], s[2:3], v4, s24, 0
	s_load_dwordx2 s[2:3], s[18:19], 0x0
	s_add_u32 s22, s22, 1
	v_mul_lo_u32 v1, v5, s24
	v_mul_lo_u32 v7, v4, s25
	s_load_dwordx2 s[24:25], s[16:17], 0x0
	s_addc_u32 s23, s23, 0
	v_add3_u32 v1, v15, v7, v1
	v_sub_co_u32_e32 v7, vcc, v12, v14
	s_add_u32 s16, s16, 8
	s_nop 0
	v_subb_co_u32_e32 v1, vcc, v13, v1, vcc
	s_addc_u32 s17, s17, 0
	s_waitcnt lgkmcnt(0)
	v_mul_lo_u32 v9, s2, v1
	v_mul_lo_u32 v12, s3, v7
	v_mad_u64_u32 v[10:11], s[2:3], s2, v7, v[10:11]
	s_add_u32 s18, s18, 8
	v_add3_u32 v11, v12, v11, v9
	s_addc_u32 s19, s19, 0
	v_mov_b64_e32 v[12:13], s[10:11]
	v_mul_lo_u32 v1, s24, v1
	v_mul_lo_u32 v9, s25, v7
	v_mad_u64_u32 v[2:3], s[2:3], s24, v7, v[2:3]
	s_add_u32 s20, s20, 8
	v_cmp_ge_u64_e32 vcc, s[22:23], v[12:13]
	v_add3_u32 v3, v9, v3, v1
	s_addc_u32 s21, s21, 0
	s_cbranch_vccnz .LBB0_8
; %bb.7:                                ;   in Loop: Header=BB0_2 Depth=1
	v_mov_b64_e32 v[12:13], v[4:5]
	s_branch .LBB0_2
.LBB0_8:
	s_load_dwordx2 s[0:1], s[0:1], 0x28
	s_lshl_b64 s[10:11], s[10:11], 3
	s_add_u32 s2, s14, s10
	s_mov_b32 s14, 0xaaaaaaab
	v_mul_hi_u32 v1, v6, s14
	v_lshrrev_b32_e32 v1, 2, v1
	v_mul_lo_u32 v1, v1, 6
	s_addc_u32 s3, s15, s11
	v_sub_u32_e32 v1, v6, v1
	s_waitcnt lgkmcnt(0)
	v_cmp_gt_u64_e32 vcc, s[0:1], v[4:5]
	v_cmp_le_u64_e64 s[0:1], s[0:1], v[4:5]
                                        ; implicit-def: $vgpr6
                                        ; implicit-def: $vgpr8
	s_and_saveexec_b64 s[14:15], s[0:1]
	s_xor_b64 s[0:1], exec, s[14:15]
; %bb.9:
	s_mov_b32 s14, 0x1999999a
	v_mul_hi_u32 v6, v0, s14
	v_mul_u32_u24_e32 v6, 10, v6
	v_sub_u32_e32 v6, v0, v6
	v_add_u32_e32 v8, 10, v6
                                        ; implicit-def: $vgpr0
                                        ; implicit-def: $vgpr10_vgpr11
; %bb.10:
	s_or_saveexec_b64 s[0:1], s[0:1]
	v_mul_u32_u24_e32 v1, 0x51, v1
	v_lshlrev_b32_e32 v18, 2, v1
	s_xor_b64 exec, exec, s[0:1]
	s_cbranch_execz .LBB0_12
; %bb.11:
	s_add_u32 s10, s12, s10
	s_addc_u32 s11, s13, s11
	s_load_dwordx2 s[10:11], s[10:11], 0x0
	s_mov_b32 s12, 0x1999999a
	s_waitcnt lgkmcnt(0)
	v_mul_lo_u32 v1, s11, v4
	v_mul_lo_u32 v6, s10, v5
	v_mad_u64_u32 v[8:9], s[10:11], s10, v4, 0
	v_add3_u32 v9, v9, v6, v1
	v_mul_hi_u32 v1, v0, s12
	v_mul_u32_u24_e32 v1, 10, v1
	v_sub_u32_e32 v6, v0, v1
	v_lshl_add_u64 v[0:1], v[8:9], 2, s[4:5]
	v_lshl_add_u64 v[0:1], v[10:11], 2, v[0:1]
	v_lshlrev_b32_e32 v10, 2, v6
	v_mov_b32_e32 v11, 0
	v_lshl_add_u64 v[0:1], v[0:1], 0, v[10:11]
	global_load_dword v7, v[0:1], off
	global_load_dword v9, v[0:1], off offset:40
	global_load_dword v11, v[0:1], off offset:80
	;; [unrolled: 1-line block ×7, first 2 shown]
	v_add_u32_e32 v8, 10, v6
	v_add3_u32 v0, 0, v18, v10
	s_waitcnt vmcnt(6)
	ds_write2_b32 v0, v7, v9 offset1:10
	s_waitcnt vmcnt(4)
	ds_write2_b32 v0, v11, v12 offset0:20 offset1:30
	s_waitcnt vmcnt(2)
	ds_write2_b32 v0, v13, v14 offset0:40 offset1:50
	;; [unrolled: 2-line block ×3, first 2 shown]
.LBB0_12:
	s_or_b64 exec, exec, s[0:1]
	v_lshlrev_b32_e32 v7, 2, v6
	v_add_u32_e32 v16, 0, v18
	v_add3_u32 v9, 0, v7, v18
	s_load_dwordx2 s[2:3], s[2:3], 0x0
	s_waitcnt lgkmcnt(0)
	; wave barrier
	s_waitcnt lgkmcnt(0)
	v_add_u32_e32 v17, v16, v7
	ds_read2_b32 v[0:1], v9 offset0:10 offset1:16
	ds_read2_b32 v[10:11], v9 offset0:26 offset1:32
	;; [unrolled: 1-line block ×4, first 2 shown]
	ds_read_b32 v19, v9 offset:296
	ds_read_b32 v21, v17
	s_movk_i32 s11, 0x3b9c
	s_waitcnt lgkmcnt(4)
	v_pk_add_f16 v28, v1, v11 neg_lo:[0,1] neg_hi:[0,1]
	s_waitcnt lgkmcnt(3)
	v_pk_add_f16 v22, v11, v13 neg_lo:[0,1] neg_hi:[0,1]
	;; [unrolled: 2-line block ×3, first 2 shown]
	v_pk_add_f16 v24, v1, v15
	v_pk_add_f16 v29, v11, v1 neg_lo:[0,1] neg_hi:[0,1]
	s_waitcnt lgkmcnt(0)
	v_pk_add_f16 v1, v21, v1
	v_pk_add_f16 v25, v11, v13
	v_pk_fma_f16 v24, v24, -0.5, v21 op_sel_hi:[1,0,1]
	v_pk_mul_f16 v27, v22, s11 op_sel_hi:[1,0]
	s_movk_i32 s12, 0x38b4
	v_pk_add_f16 v1, v1, v11
	v_pk_fma_f16 v25, v25, -0.5, v21 op_sel_hi:[1,0,1]
	v_pk_mul_f16 v26, v23, s11 op_sel_hi:[1,0]
	v_pk_mul_f16 v23, v23, s12 op_sel_hi:[1,0]
	v_pk_add_f16 v30, v15, v13 neg_lo:[0,1] neg_hi:[0,1]
	v_pk_add_f16 v31, v13, v15 neg_lo:[0,1] neg_hi:[0,1]
	v_pk_add_f16 v1, v1, v13
	v_pk_add_f16 v11, v24, v27 op_sel:[0,1] op_sel_hi:[1,0] neg_lo:[0,1] neg_hi:[0,1]
	v_pk_add_f16 v13, v24, v27 op_sel:[0,1] op_sel_hi:[1,0]
	v_pk_mul_f16 v22, v22, s12 op_sel_hi:[1,0]
	v_pk_add_f16 v13, v13, v23 op_sel:[0,1] op_sel_hi:[1,0] neg_lo:[0,1] neg_hi:[0,1]
	v_pk_add_f16 v11, v11, v23 op_sel:[0,1] op_sel_hi:[1,0]
	v_pk_add_f16 v21, v25, v26 op_sel:[0,1] op_sel_hi:[1,0]
	v_pk_add_f16 v23, v25, v26 op_sel:[0,1] op_sel_hi:[1,0] neg_lo:[0,1] neg_hi:[0,1]
	s_mov_b32 s10, 0xffff
	v_pk_add_f16 v21, v21, v22 op_sel:[0,1] op_sel_hi:[1,0]
	v_pk_add_f16 v22, v23, v22 op_sel:[0,1] op_sel_hi:[1,0] neg_lo:[0,1] neg_hi:[0,1]
	v_pk_add_f16 v28, v28, v30
	v_bfi_b32 v23, s10, v21, v22
	s_movk_i32 s13, 0x34f2
	v_bfi_b32 v21, s10, v22, v21
	v_lshl_add_u32 v20, v6, 4, v9
	v_pk_add_f16 v1, v1, v15
	v_pk_fma_f16 v21, v28, s13, v21 op_sel_hi:[1,0,1]
	v_pk_add_f16 v29, v29, v31
	s_waitcnt lgkmcnt(0)
	; wave barrier
	ds_write2_b32 v20, v1, v21 offset1:1
	v_bfi_b32 v1, s10, v13, v11
	v_bfi_b32 v15, s10, v11, v13
	v_pk_fma_f16 v1, v29, s13, v1 op_sel_hi:[1,0,1]
	v_cmp_gt_u32_e64 s[0:1], 6, v6
	v_pk_fma_f16 v23, v28, s13, v23 op_sel_hi:[1,0,1]
	v_pk_fma_f16 v15, v29, s13, v15 op_sel_hi:[1,0,1]
	ds_write_b32 v20, v1 offset:8
	ds_write2_b32 v20, v15, v23 offset0:3 offset1:4
	s_and_saveexec_b64 s[4:5], s[0:1]
	s_cbranch_execz .LBB0_14
; %bb.13:
	v_pk_add_f16 v20, v10, v12 neg_lo:[0,1] neg_hi:[0,1]
	v_pk_add_f16 v21, v19, v14 neg_lo:[0,1] neg_hi:[0,1]
	;; [unrolled: 1-line block ×3, first 2 shown]
	v_pk_add_f16 v20, v20, v21
	v_pk_add_f16 v21, v12, v14
	v_pk_add_f16 v15, v12, v14 neg_lo:[0,1] neg_hi:[0,1]
	v_pk_fma_f16 v21, v21, 0.5, v0 op_sel_hi:[1,0,1] neg_lo:[1,0,0] neg_hi:[1,0,0]
	v_pk_mul_f16 v22, v13, s11 op_sel_hi:[1,0]
	v_pk_add_f16 v1, v0, v10
	v_pk_add_f16 v23, v21, v22 op_sel:[0,1] op_sel_hi:[1,0] neg_lo:[0,1] neg_hi:[0,1]
	v_pk_add_f16 v21, v21, v22 op_sel:[0,1] op_sel_hi:[1,0]
	v_pk_mul_f16 v22, v15, s12 op_sel_hi:[1,0]
	v_pk_add_f16 v1, v1, v12
	v_pk_add_f16 v23, v23, v22 op_sel:[0,1] op_sel_hi:[1,0] neg_lo:[0,1] neg_hi:[0,1]
	v_pk_add_f16 v21, v21, v22 op_sel:[0,1] op_sel_hi:[1,0]
	v_mul_i32_i24_e32 v11, 20, v8
	v_pk_add_f16 v1, v1, v14
	v_bfi_b32 v22, s10, v23, v21
	v_add3_u32 v11, 0, v11, v18
	v_pk_add_f16 v1, v1, v19
	v_pk_fma_f16 v22, v20, s13, v22 op_sel_hi:[1,0,1]
	ds_write2_b32 v11, v1, v22 offset1:1
	v_pk_add_f16 v1, v12, v10 neg_lo:[0,1] neg_hi:[0,1]
	v_pk_add_f16 v10, v10, v19
	v_pk_add_f16 v12, v14, v19 neg_lo:[0,1] neg_hi:[0,1]
	v_pk_fma_f16 v0, v10, 0.5, v0 op_sel_hi:[1,0,1] neg_lo:[1,0,0] neg_hi:[1,0,0]
	v_pk_mul_f16 v10, v15, s11 op_sel_hi:[1,0]
	v_pk_add_f16 v1, v1, v12
	v_pk_add_f16 v12, v0, v10 op_sel:[0,1] op_sel_hi:[1,0]
	v_pk_add_f16 v0, v0, v10 op_sel:[0,1] op_sel_hi:[1,0] neg_lo:[0,1] neg_hi:[0,1]
	v_pk_mul_f16 v10, v13, s12 op_sel_hi:[1,0]
	s_nop 0
	v_pk_add_f16 v12, v12, v10 op_sel:[0,1] op_sel_hi:[1,0] neg_lo:[0,1] neg_hi:[0,1]
	v_pk_add_f16 v0, v0, v10 op_sel:[0,1] op_sel_hi:[1,0]
	s_nop 0
	v_bfi_b32 v10, s10, v12, v0
	v_bfi_b32 v0, s10, v0, v12
	v_pk_fma_f16 v10, v1, s13, v10 op_sel_hi:[1,0,1]
	v_pk_fma_f16 v0, v1, s13, v0 op_sel_hi:[1,0,1]
	ds_write2_b32 v11, v10, v0 offset0:2 offset1:3
	v_bfi_b32 v0, s10, v21, v23
	v_pk_fma_f16 v0, v20, s13, v0 op_sel_hi:[1,0,1]
	ds_write_b32 v11, v0 offset:16
.LBB0_14:
	s_or_b64 exec, exec, s[4:5]
	v_add_u32_e32 v0, -5, v6
	v_cmp_gt_u32_e64 s[0:1], 5, v6
	v_add_u16_e32 v13, 20, v6
	v_mov_b32_e32 v1, 0
	v_cndmask_b32_e64 v0, v0, v6, s[0:1]
	s_movk_i32 s0, 0xcd
	v_mul_lo_u16_sdwa v14, v13, s0 dst_sel:DWORD dst_unused:UNUSED_PAD src0_sel:BYTE_0 src1_sel:DWORD
	v_lshrrev_b16_e32 v20, 10, v14
	v_mul_lo_u16_e32 v14, 5, v20
	v_sub_u16_e32 v13, v13, v14
	v_add_u16_e32 v14, 30, v6
	v_mul_lo_u16_sdwa v15, v14, s0 dst_sel:DWORD dst_unused:UNUSED_PAD src0_sel:BYTE_0 src1_sel:DWORD
	v_mul_lo_u16_sdwa v12, v8, s0 dst_sel:DWORD dst_unused:UNUSED_PAD src0_sel:BYTE_0 src1_sel:DWORD
	v_lshrrev_b16_e32 v21, 10, v15
	v_lshrrev_b16_e32 v19, 10, v12
	v_mul_lo_u16_e32 v15, 5, v21
	v_mul_lo_u16_e32 v12, 5, v19
	v_sub_u16_e32 v14, v14, v15
	v_mov_b32_e32 v15, 2
	v_sub_u16_e32 v12, v8, v12
	v_lshlrev_b32_sdwa v24, v15, v14 dst_sel:DWORD dst_unused:UNUSED_PAD src0_sel:DWORD src1_sel:BYTE_0
	s_waitcnt lgkmcnt(0)
	; wave barrier
	s_waitcnt lgkmcnt(0)
	v_lshl_add_u64 v[10:11], v[0:1], 2, s[8:9]
	v_lshlrev_b32_sdwa v22, v15, v12 dst_sel:DWORD dst_unused:UNUSED_PAD src0_sel:DWORD src1_sel:BYTE_0
	v_lshlrev_b32_sdwa v23, v15, v13 dst_sel:DWORD dst_unused:UNUSED_PAD src0_sel:DWORD src1_sel:BYTE_0
	global_load_dword v25, v24, s[8:9]
	global_load_dword v26, v23, s[8:9]
	;; [unrolled: 1-line block ×3, first 2 shown]
	global_load_dword v28, v[10:11], off
	ds_read2_b32 v[10:11], v9 offset0:40 offset1:50
	ds_read2_b32 v[12:13], v9 offset0:60 offset1:70
	;; [unrolled: 1-line block ×3, first 2 shown]
	v_cmp_lt_u32_e64 s[0:1], 4, v6
	v_lshlrev_b32_e32 v29, 2, v8
	v_add3_u32 v29, 0, v29, v18
	v_cndmask_b32_e64 v30, 0, 40, s[0:1]
	v_add_u32_e32 v30, 0, v30
	ds_read_b32 v32, v17
	ds_read_b32 v33, v29
	v_lshlrev_b32_e32 v0, 2, v0
	v_mad_u32_u24 v19, v19, 40, 0
	v_mad_u32_u24 v20, v20, 40, 0
	v_mad_u32_u24 v21, v21, 40, 0
	v_add3_u32 v0, v30, v0, v18
	v_add3_u32 v19, v19, v22, v18
	;; [unrolled: 1-line block ×4, first 2 shown]
	v_mul_u32_u24_e32 v31, 7, v6
	v_lshlrev_b32_e32 v31, 2, v31
	s_waitcnt lgkmcnt(0)
	; wave barrier
	s_waitcnt lgkmcnt(0)
	s_mov_b32 s0, 0xb9a8
	s_movk_i32 s1, 0x39a8
	s_waitcnt vmcnt(3)
	v_pk_mul_f16 v21, v25, v13 op_sel:[0,1]
	s_waitcnt vmcnt(2)
	v_pk_mul_f16 v22, v26, v12 op_sel:[0,1]
	s_waitcnt vmcnt(1)
	v_pk_mul_f16 v23, v27, v11 op_sel:[0,1]
	s_waitcnt vmcnt(0)
	v_pk_mul_f16 v24, v28, v10 op_sel:[0,1]
	v_pk_fma_f16 v30, v25, v13, v21 op_sel:[0,0,1] op_sel_hi:[1,1,0]
	v_pk_fma_f16 v13, v25, v13, v21 op_sel:[0,0,1] op_sel_hi:[1,0,0] neg_lo:[1,0,0] neg_hi:[1,0,0]
	v_pk_fma_f16 v21, v26, v12, v22 op_sel:[0,0,1] op_sel_hi:[1,1,0]
	v_pk_fma_f16 v12, v26, v12, v22 op_sel:[0,0,1] op_sel_hi:[1,0,0] neg_lo:[1,0,0] neg_hi:[1,0,0]
	;; [unrolled: 2-line block ×4, first 2 shown]
	v_bfi_b32 v13, s10, v30, v13
	v_bfi_b32 v10, s10, v23, v10
	;; [unrolled: 1-line block ×4, first 2 shown]
	v_pk_add_f16 v10, v32, v10 neg_lo:[0,1] neg_hi:[0,1]
	v_pk_add_f16 v13, v15, v13 neg_lo:[0,1] neg_hi:[0,1]
	;; [unrolled: 1-line block ×4, first 2 shown]
	v_pk_fma_f16 v22, v32, 2.0, v10 op_sel_hi:[1,0,1] neg_lo:[0,0,1] neg_hi:[0,0,1]
	v_pk_fma_f16 v15, v15, 2.0, v13 op_sel_hi:[1,0,1] neg_lo:[0,0,1] neg_hi:[0,0,1]
	;; [unrolled: 1-line block ×4, first 2 shown]
	ds_write2_b32 v0, v22, v10 offset1:5
	ds_write2_b32 v19, v21, v11 offset1:5
	;; [unrolled: 1-line block ×4, first 2 shown]
	s_waitcnt lgkmcnt(0)
	; wave barrier
	s_waitcnt lgkmcnt(0)
	global_load_dwordx4 v[10:13], v31, s[8:9] offset:20
	global_load_dwordx3 v[18:20], v31, s[8:9] offset:36
	ds_read2_b32 v[14:15], v9 offset0:60 offset1:70
	ds_read_b32 v0, v17
	ds_read_b32 v21, v29
	ds_read2_b32 v[22:23], v9 offset0:20 offset1:30
	ds_read2_b32 v[24:25], v9 offset0:40 offset1:50
	s_waitcnt lgkmcnt(4)
	v_lshrrev_b32_e32 v26, 16, v15
	v_lshrrev_b32_e32 v32, 16, v14
	s_waitcnt lgkmcnt(2)
	v_lshrrev_b32_e32 v27, 16, v21
	s_waitcnt lgkmcnt(1)
	v_lshrrev_b32_e32 v28, 16, v22
	v_lshrrev_b32_e32 v29, 16, v23
	s_waitcnt lgkmcnt(0)
	v_lshrrev_b32_e32 v30, 16, v24
	v_lshrrev_b32_e32 v31, 16, v25
	;; [unrolled: 1-line block ×3, first 2 shown]
	s_waitcnt lgkmcnt(0)
	; wave barrier
	s_waitcnt vmcnt(1)
	v_mul_f16_sdwa v34, v10, v27 dst_sel:DWORD dst_unused:UNUSED_PAD src0_sel:WORD_1 src1_sel:DWORD
	v_mul_f16_sdwa v35, v10, v21 dst_sel:DWORD dst_unused:UNUSED_PAD src0_sel:WORD_1 src1_sel:DWORD
	;; [unrolled: 1-line block ×8, first 2 shown]
	s_waitcnt vmcnt(0)
	v_mul_f16_sdwa v42, v18, v31 dst_sel:DWORD dst_unused:UNUSED_PAD src0_sel:WORD_1 src1_sel:DWORD
	v_mul_f16_sdwa v43, v18, v25 dst_sel:DWORD dst_unused:UNUSED_PAD src0_sel:WORD_1 src1_sel:DWORD
	;; [unrolled: 1-line block ×4, first 2 shown]
	v_mul_f16_sdwa v46, v26, v20 dst_sel:DWORD dst_unused:UNUSED_PAD src0_sel:DWORD src1_sel:WORD_1
	v_mul_f16_sdwa v47, v15, v20 dst_sel:DWORD dst_unused:UNUSED_PAD src0_sel:DWORD src1_sel:WORD_1
	v_fma_f16 v21, v10, v21, v34
	v_fma_f16 v10, v10, v27, -v35
	v_fma_f16 v22, v11, v22, v36
	v_fma_f16 v11, v11, v28, -v37
	v_fma_f16 v23, v12, v23, v38
	v_fma_f16 v12, v12, v29, -v39
	v_fma_f16 v24, v13, v24, v40
	v_fma_f16 v13, v13, v30, -v41
	v_fma_f16 v25, v18, v25, v42
	v_fma_f16 v18, v18, v31, -v43
	v_fma_f16 v14, v19, v14, v44
	v_fma_f16 v19, v19, v32, -v45
	v_fma_f16 v15, v15, v20, v46
	v_fma_f16 v20, v26, v20, -v47
	v_sub_f16_e32 v24, v0, v24
	v_sub_f16_e32 v13, v33, v13
	v_sub_f16_e32 v14, v22, v14
	v_sub_f16_e32 v19, v11, v19
	v_sub_f16_e32 v25, v21, v25
	v_sub_f16_e32 v18, v10, v18
	v_sub_f16_e32 v15, v23, v15
	v_sub_f16_e32 v20, v12, v20
	v_fma_f16 v0, v0, 2.0, -v24
	v_fma_f16 v26, v33, 2.0, -v13
	;; [unrolled: 1-line block ×8, first 2 shown]
	v_add_f16_e32 v19, v24, v19
	v_sub_f16_e32 v14, v13, v14
	v_add_f16_e32 v20, v25, v20
	v_sub_f16_e32 v15, v18, v15
	v_sub_f16_e32 v22, v0, v22
	;; [unrolled: 1-line block ×3, first 2 shown]
	v_fma_f16 v24, v24, 2.0, -v19
	v_fma_f16 v13, v13, 2.0, -v14
	v_sub_f16_e32 v23, v21, v23
	v_sub_f16_e32 v12, v10, v12
	v_fma_f16 v25, v25, 2.0, -v20
	v_fma_f16 v18, v18, 2.0, -v15
	;; [unrolled: 1-line block ×6, first 2 shown]
	v_fma_f16 v29, v25, s0, v24
	v_fma_f16 v30, v18, s0, v13
	;; [unrolled: 1-line block ×4, first 2 shown]
	v_sub_f16_e32 v21, v0, v21
	v_sub_f16_e32 v10, v26, v10
	v_fma_f16 v18, v18, s1, v29
	v_fma_f16 v25, v25, s0, v30
	v_add_f16_e32 v12, v22, v12
	v_sub_f16_e32 v23, v11, v23
	v_fma_f16 v15, v15, s1, v27
	v_fma_f16 v20, v20, s0, v28
	v_fma_f16 v0, v0, 2.0, -v21
	v_fma_f16 v26, v26, 2.0, -v10
	;; [unrolled: 1-line block ×8, first 2 shown]
	v_pack_b32_f16 v0, v0, v26
	v_pack_b32_f16 v13, v24, v13
	ds_write2_b32 v9, v0, v13 offset1:10
	v_pack_b32_f16 v0, v22, v11
	v_pack_b32_f16 v11, v19, v14
	ds_write2_b32 v9, v0, v11 offset0:20 offset1:30
	v_pack_b32_f16 v0, v21, v10
	v_pack_b32_f16 v10, v18, v25
	ds_write2_b32 v9, v0, v10 offset0:40 offset1:50
	;; [unrolled: 3-line block ×3, first 2 shown]
	s_waitcnt lgkmcnt(0)
	; wave barrier
	s_waitcnt lgkmcnt(0)
	ds_read_b32 v9, v17
	v_sub_u32_e32 v0, v16, v7
	v_cmp_ne_u32_e64 s[0:1], 0, v6
                                        ; implicit-def: $vgpr13
                                        ; implicit-def: $vgpr12
                                        ; implicit-def: $vgpr14
                                        ; implicit-def: $vgpr10_vgpr11
	s_and_saveexec_b64 s[4:5], s[0:1]
	s_xor_b64 s[0:1], exec, s[4:5]
	s_cbranch_execz .LBB0_16
; %bb.15:
	v_mov_b32_e32 v7, v1
	v_lshl_add_u64 v[10:11], v[6:7], 2, s[8:9]
	global_load_dword v1, v[10:11], off offset:300
	ds_read_b32 v10, v0 offset:320
	s_mov_b32 s4, 0xffff
	s_waitcnt lgkmcnt(0)
	v_pk_add_f16 v11, v9, v10 neg_lo:[0,1] neg_hi:[0,1]
	v_pk_add_f16 v9, v10, v9
	s_nop 0
	v_bfi_b32 v10, s4, v11, v9
	v_pk_mul_f16 v10, v10, 0.5 op_sel_hi:[1,0]
	v_bfi_b32 v9, s4, v9, v11
	v_pk_mul_f16 v11, v9, 0.5 op_sel_hi:[1,0]
	s_waitcnt vmcnt(0)
	v_pk_mul_f16 v12, v1, v10 op_sel:[1,0]
	v_pk_mul_f16 v1, v1, v10 op_sel_hi:[0,1]
	v_pk_fma_f16 v9, v9, 0.5, v12 op_sel_hi:[1,0,1]
	v_sub_f16_e32 v10, v11, v12
	v_sub_f16_sdwa v11, v12, v11 dst_sel:DWORD dst_unused:UNUSED_PAD src0_sel:WORD_1 src1_sel:WORD_1
	v_pk_add_f16 v13, v9, v1 op_sel:[0,1] op_sel_hi:[1,0]
	v_pk_add_f16 v9, v9, v1 op_sel:[0,1] op_sel_hi:[1,0] neg_lo:[0,1] neg_hi:[0,1]
	v_sub_f16_sdwa v12, v10, v1 dst_sel:DWORD dst_unused:UNUSED_PAD src0_sel:DWORD src1_sel:WORD_1
	v_sub_f16_e32 v14, v11, v1
	v_bfi_b32 v13, s4, v13, v9
	v_mov_b64_e32 v[10:11], v[6:7]
                                        ; implicit-def: $vgpr9
.LBB0_16:
	s_andn2_saveexec_b64 s[0:1], s[0:1]
	s_cbranch_execz .LBB0_18
; %bb.17:
	ds_read_u16 v1, v16 offset:162
	s_waitcnt lgkmcnt(1)
	v_alignbit_b32 v7, s0, v9, 16
	v_pk_add_f16 v7, v7, v9
	v_sub_f16_sdwa v12, v9, v9 dst_sel:DWORD dst_unused:UNUSED_PAD src0_sel:DWORD src1_sel:WORD_1
	v_pack_b32_f16 v13, v7, 0
	s_waitcnt lgkmcnt(0)
	v_xor_b32_e32 v1, 0x8000, v1
	v_mov_b64_e32 v[10:11], 0
	v_mov_b32_e32 v14, 0
	ds_write_b16 v16, v1 offset:162
.LBB0_18:
	s_or_b64 exec, exec, s[0:1]
	s_waitcnt lgkmcnt(0)
	v_mov_b32_e32 v9, 0
	v_lshl_add_u64 v[18:19], v[8:9], 2, s[8:9]
	global_load_dword v1, v[18:19], off offset:300
	s_add_u32 s0, s8, 0x12c
	s_addc_u32 s1, s9, 0
	v_lshl_add_u64 v[10:11], v[10:11], 2, s[0:1]
	global_load_dword v7, v[10:11], off offset:80
	global_load_dword v15, v[10:11], off offset:120
	ds_write_b16 v0, v14 offset:322
	ds_write_b32 v17, v13
	ds_write_b16 v0, v12 offset:320
	v_lshl_add_u32 v8, v8, 2, v16
	ds_read_b32 v10, v8
	ds_read_b32 v11, v0 offset:280
	s_mov_b32 s0, 0xffff
	s_waitcnt lgkmcnt(0)
	v_pk_add_f16 v12, v10, v11 neg_lo:[0,1] neg_hi:[0,1]
	v_pk_add_f16 v10, v10, v11
	s_nop 0
	v_bfi_b32 v11, s0, v12, v10
	v_bfi_b32 v10, s0, v10, v12
	v_pk_mul_f16 v11, v11, 0.5 op_sel_hi:[1,0]
	v_pk_mul_f16 v10, v10, 0.5 op_sel_hi:[1,0]
	s_waitcnt vmcnt(2)
	v_pk_mul_f16 v13, v1, v11 op_sel_hi:[0,1]
	v_pk_fma_f16 v12, v1, v11, v10 op_sel:[1,0,0]
	v_pk_fma_f16 v14, v1, v11, v10 op_sel:[1,0,0] neg_lo:[1,0,0] neg_hi:[1,0,0]
	v_pk_fma_f16 v1, v1, v11, v10 op_sel:[1,0,0] neg_lo:[0,0,1] neg_hi:[0,0,1]
	v_pk_add_f16 v10, v12, v13 op_sel:[0,1] op_sel_hi:[1,0]
	v_pk_add_f16 v11, v12, v13 op_sel:[0,1] op_sel_hi:[1,0] neg_lo:[0,1] neg_hi:[0,1]
	v_pk_add_f16 v12, v14, v13 op_sel:[0,1] op_sel_hi:[1,0] neg_lo:[0,1] neg_hi:[0,1]
	;; [unrolled: 1-line block ×3, first 2 shown]
	v_bfi_b32 v10, s0, v10, v11
	v_bfi_b32 v1, s0, v12, v1
	ds_write_b32 v8, v10
	ds_write_b32 v0, v1 offset:280
	ds_read_b32 v1, v17 offset:80
	ds_read_b32 v8, v0 offset:240
	s_waitcnt lgkmcnt(0)
	v_pk_add_f16 v10, v1, v8 neg_lo:[0,1] neg_hi:[0,1]
	v_pk_add_f16 v1, v1, v8
	s_nop 0
	v_bfi_b32 v8, s0, v10, v1
	v_bfi_b32 v1, s0, v1, v10
	v_pk_mul_f16 v8, v8, 0.5 op_sel_hi:[1,0]
	v_pk_mul_f16 v1, v1, 0.5 op_sel_hi:[1,0]
	s_waitcnt vmcnt(1)
	v_pk_mul_f16 v11, v7, v8 op_sel_hi:[0,1]
	v_pk_fma_f16 v10, v7, v8, v1 op_sel:[1,0,0]
	v_pk_fma_f16 v12, v7, v8, v1 op_sel:[1,0,0] neg_lo:[1,0,0] neg_hi:[1,0,0]
	v_pk_fma_f16 v1, v7, v8, v1 op_sel:[1,0,0] neg_lo:[0,0,1] neg_hi:[0,0,1]
	v_pk_add_f16 v7, v10, v11 op_sel:[0,1] op_sel_hi:[1,0]
	v_pk_add_f16 v8, v10, v11 op_sel:[0,1] op_sel_hi:[1,0] neg_lo:[0,1] neg_hi:[0,1]
	v_pk_add_f16 v10, v12, v11 op_sel:[0,1] op_sel_hi:[1,0] neg_lo:[0,1] neg_hi:[0,1]
	;; [unrolled: 1-line block ×3, first 2 shown]
	v_bfi_b32 v7, s0, v7, v8
	v_bfi_b32 v1, s0, v10, v1
	ds_write_b32 v17, v7 offset:80
	ds_write_b32 v0, v1 offset:240
	ds_read_b32 v1, v17 offset:120
	ds_read_b32 v7, v0 offset:200
	s_waitcnt lgkmcnt(0)
	v_pk_add_f16 v8, v1, v7 neg_lo:[0,1] neg_hi:[0,1]
	v_pk_add_f16 v1, v1, v7
	s_nop 0
	v_bfi_b32 v7, s0, v8, v1
	v_bfi_b32 v1, s0, v1, v8
	v_pk_mul_f16 v7, v7, 0.5 op_sel_hi:[1,0]
	v_pk_mul_f16 v1, v1, 0.5 op_sel_hi:[1,0]
	s_waitcnt vmcnt(0)
	v_pk_mul_f16 v10, v15, v7 op_sel_hi:[0,1]
	v_pk_fma_f16 v8, v15, v7, v1 op_sel:[1,0,0]
	v_pk_fma_f16 v11, v15, v7, v1 op_sel:[1,0,0] neg_lo:[1,0,0] neg_hi:[1,0,0]
	v_pk_fma_f16 v1, v15, v7, v1 op_sel:[1,0,0] neg_lo:[0,0,1] neg_hi:[0,0,1]
	v_pk_add_f16 v7, v8, v10 op_sel:[0,1] op_sel_hi:[1,0]
	v_pk_add_f16 v8, v8, v10 op_sel:[0,1] op_sel_hi:[1,0] neg_lo:[0,1] neg_hi:[0,1]
	v_pk_add_f16 v11, v11, v10 op_sel:[0,1] op_sel_hi:[1,0] neg_lo:[0,1] neg_hi:[0,1]
	;; [unrolled: 1-line block ×3, first 2 shown]
	v_bfi_b32 v7, s0, v7, v8
	v_bfi_b32 v1, s0, v11, v1
	ds_write_b32 v17, v7 offset:120
	ds_write_b32 v0, v1 offset:200
	s_waitcnt lgkmcnt(0)
	; wave barrier
	s_waitcnt lgkmcnt(0)
	s_and_saveexec_b64 s[0:1], vcc
	s_cbranch_execz .LBB0_21
; %bb.19:
	v_mul_lo_u32 v7, s3, v4
	v_mad_u64_u32 v[0:1], s[0:1], s2, v4, 0
	v_lshl_add_u32 v4, v6, 2, v16
	v_mul_lo_u32 v5, s2, v5
	ds_read2_b32 v[10:11], v4 offset1:10
	v_add3_u32 v1, v1, v5, v7
	v_lshl_add_u64 v[0:1], v[0:1], 2, s[6:7]
	v_mov_b32_e32 v7, v9
	v_lshl_add_u64 v[0:1], v[2:3], 2, v[0:1]
	v_lshl_add_u64 v[2:3], v[6:7], 2, v[0:1]
	s_waitcnt lgkmcnt(0)
	global_store_dword v[2:3], v10, off
	ds_read2_b32 v[2:3], v4 offset0:20 offset1:30
	v_add_u32_e32 v8, 10, v6
	v_lshl_add_u64 v[12:13], v[8:9], 2, v[0:1]
	v_add_u32_e32 v8, 20, v6
	global_store_dword v[12:13], v11, off
	v_lshl_add_u64 v[10:11], v[8:9], 2, v[0:1]
	s_waitcnt lgkmcnt(0)
	global_store_dword v[10:11], v2, off
	ds_read2_b32 v[10:11], v4 offset0:40 offset1:50
	v_add_u32_e32 v8, 30, v6
	v_lshl_add_u64 v[12:13], v[8:9], 2, v[0:1]
	v_add_u32_e32 v8, 40, v6
	global_store_dword v[12:13], v3, off
	;; [unrolled: 8-line block ×3, first 2 shown]
	v_lshl_add_u64 v[10:11], v[8:9], 2, v[0:1]
	v_add_u32_e32 v8, 0x46, v6
	v_lshl_add_u64 v[8:9], v[8:9], 2, v[0:1]
	v_cmp_eq_u32_e32 vcc, 9, v6
	s_waitcnt lgkmcnt(0)
	global_store_dword v[10:11], v2, off
	global_store_dword v[8:9], v3, off
	s_and_b64 exec, exec, vcc
	s_cbranch_execz .LBB0_21
; %bb.20:
	ds_read_b32 v2, v4 offset:284
	s_waitcnt lgkmcnt(0)
	global_store_dword v[0:1], v2, off offset:320
.LBB0_21:
	s_endpgm
	.section	.rodata,"a",@progbits
	.p2align	6, 0x0
	.amdhsa_kernel fft_rtc_back_len80_factors_5_2_8_wgs_60_tpt_10_halfLds_half_op_CI_CI_unitstride_sbrr_R2C_dirReg
		.amdhsa_group_segment_fixed_size 0
		.amdhsa_private_segment_fixed_size 0
		.amdhsa_kernarg_size 104
		.amdhsa_user_sgpr_count 2
		.amdhsa_user_sgpr_dispatch_ptr 0
		.amdhsa_user_sgpr_queue_ptr 0
		.amdhsa_user_sgpr_kernarg_segment_ptr 1
		.amdhsa_user_sgpr_dispatch_id 0
		.amdhsa_user_sgpr_kernarg_preload_length 0
		.amdhsa_user_sgpr_kernarg_preload_offset 0
		.amdhsa_user_sgpr_private_segment_size 0
		.amdhsa_uses_dynamic_stack 0
		.amdhsa_enable_private_segment 0
		.amdhsa_system_sgpr_workgroup_id_x 1
		.amdhsa_system_sgpr_workgroup_id_y 0
		.amdhsa_system_sgpr_workgroup_id_z 0
		.amdhsa_system_sgpr_workgroup_info 0
		.amdhsa_system_vgpr_workitem_id 0
		.amdhsa_next_free_vgpr 48
		.amdhsa_next_free_sgpr 28
		.amdhsa_accum_offset 48
		.amdhsa_reserve_vcc 1
		.amdhsa_float_round_mode_32 0
		.amdhsa_float_round_mode_16_64 0
		.amdhsa_float_denorm_mode_32 3
		.amdhsa_float_denorm_mode_16_64 3
		.amdhsa_dx10_clamp 1
		.amdhsa_ieee_mode 1
		.amdhsa_fp16_overflow 0
		.amdhsa_tg_split 0
		.amdhsa_exception_fp_ieee_invalid_op 0
		.amdhsa_exception_fp_denorm_src 0
		.amdhsa_exception_fp_ieee_div_zero 0
		.amdhsa_exception_fp_ieee_overflow 0
		.amdhsa_exception_fp_ieee_underflow 0
		.amdhsa_exception_fp_ieee_inexact 0
		.amdhsa_exception_int_div_zero 0
	.end_amdhsa_kernel
	.text
.Lfunc_end0:
	.size	fft_rtc_back_len80_factors_5_2_8_wgs_60_tpt_10_halfLds_half_op_CI_CI_unitstride_sbrr_R2C_dirReg, .Lfunc_end0-fft_rtc_back_len80_factors_5_2_8_wgs_60_tpt_10_halfLds_half_op_CI_CI_unitstride_sbrr_R2C_dirReg
                                        ; -- End function
	.section	.AMDGPU.csdata,"",@progbits
; Kernel info:
; codeLenInByte = 4900
; NumSgprs: 34
; NumVgprs: 48
; NumAgprs: 0
; TotalNumVgprs: 48
; ScratchSize: 0
; MemoryBound: 0
; FloatMode: 240
; IeeeMode: 1
; LDSByteSize: 0 bytes/workgroup (compile time only)
; SGPRBlocks: 4
; VGPRBlocks: 5
; NumSGPRsForWavesPerEU: 34
; NumVGPRsForWavesPerEU: 48
; AccumOffset: 48
; Occupancy: 8
; WaveLimiterHint : 1
; COMPUTE_PGM_RSRC2:SCRATCH_EN: 0
; COMPUTE_PGM_RSRC2:USER_SGPR: 2
; COMPUTE_PGM_RSRC2:TRAP_HANDLER: 0
; COMPUTE_PGM_RSRC2:TGID_X_EN: 1
; COMPUTE_PGM_RSRC2:TGID_Y_EN: 0
; COMPUTE_PGM_RSRC2:TGID_Z_EN: 0
; COMPUTE_PGM_RSRC2:TIDIG_COMP_CNT: 0
; COMPUTE_PGM_RSRC3_GFX90A:ACCUM_OFFSET: 11
; COMPUTE_PGM_RSRC3_GFX90A:TG_SPLIT: 0
	.text
	.p2alignl 6, 3212836864
	.fill 256, 4, 3212836864
	.type	__hip_cuid_8dc0555e14fcc8bd,@object ; @__hip_cuid_8dc0555e14fcc8bd
	.section	.bss,"aw",@nobits
	.globl	__hip_cuid_8dc0555e14fcc8bd
__hip_cuid_8dc0555e14fcc8bd:
	.byte	0                               ; 0x0
	.size	__hip_cuid_8dc0555e14fcc8bd, 1

	.ident	"AMD clang version 19.0.0git (https://github.com/RadeonOpenCompute/llvm-project roc-6.4.0 25133 c7fe45cf4b819c5991fe208aaa96edf142730f1d)"
	.section	".note.GNU-stack","",@progbits
	.addrsig
	.addrsig_sym __hip_cuid_8dc0555e14fcc8bd
	.amdgpu_metadata
---
amdhsa.kernels:
  - .agpr_count:     0
    .args:
      - .actual_access:  read_only
        .address_space:  global
        .offset:         0
        .size:           8
        .value_kind:     global_buffer
      - .offset:         8
        .size:           8
        .value_kind:     by_value
      - .actual_access:  read_only
        .address_space:  global
        .offset:         16
        .size:           8
        .value_kind:     global_buffer
      - .actual_access:  read_only
        .address_space:  global
        .offset:         24
        .size:           8
        .value_kind:     global_buffer
      - .actual_access:  read_only
        .address_space:  global
        .offset:         32
        .size:           8
        .value_kind:     global_buffer
      - .offset:         40
        .size:           8
        .value_kind:     by_value
      - .actual_access:  read_only
        .address_space:  global
        .offset:         48
        .size:           8
        .value_kind:     global_buffer
      - .actual_access:  read_only
        .address_space:  global
        .offset:         56
        .size:           8
        .value_kind:     global_buffer
      - .offset:         64
        .size:           4
        .value_kind:     by_value
      - .actual_access:  read_only
        .address_space:  global
        .offset:         72
        .size:           8
        .value_kind:     global_buffer
      - .actual_access:  read_only
        .address_space:  global
        .offset:         80
        .size:           8
        .value_kind:     global_buffer
      - .actual_access:  read_only
        .address_space:  global
        .offset:         88
        .size:           8
        .value_kind:     global_buffer
      - .actual_access:  write_only
        .address_space:  global
        .offset:         96
        .size:           8
        .value_kind:     global_buffer
    .group_segment_fixed_size: 0
    .kernarg_segment_align: 8
    .kernarg_segment_size: 104
    .language:       OpenCL C
    .language_version:
      - 2
      - 0
    .max_flat_workgroup_size: 60
    .name:           fft_rtc_back_len80_factors_5_2_8_wgs_60_tpt_10_halfLds_half_op_CI_CI_unitstride_sbrr_R2C_dirReg
    .private_segment_fixed_size: 0
    .sgpr_count:     34
    .sgpr_spill_count: 0
    .symbol:         fft_rtc_back_len80_factors_5_2_8_wgs_60_tpt_10_halfLds_half_op_CI_CI_unitstride_sbrr_R2C_dirReg.kd
    .uniform_work_group_size: 1
    .uses_dynamic_stack: false
    .vgpr_count:     48
    .vgpr_spill_count: 0
    .wavefront_size: 64
amdhsa.target:   amdgcn-amd-amdhsa--gfx950
amdhsa.version:
  - 1
  - 2
...

	.end_amdgpu_metadata
